;; amdgpu-corpus repo=ROCm/bitsandbytes kind=harvested arch=n/a opt=n/a
	.text
	.amdgcn_target "amdgcn-amd-amdhsa--gfx1100"
	.amdhsa_code_object_version 6
	.protected	_Z21kOptimizer32bit1StateIfLi1EEvPT_S1_PfS2_ffffffiffbi ; -- Begin function _Z21kOptimizer32bit1StateIfLi1EEvPT_S1_PfS2_ffffffiffbi
	.globl	_Z21kOptimizer32bit1StateIfLi1EEvPT_S1_PfS2_ffffffiffbi
	.p2align	8
	.type	_Z21kOptimizer32bit1StateIfLi1EEvPT_S1_PfS2_ffffffiffbi,@function
_Z21kOptimizer32bit1StateIfLi1EEvPT_S1_PfS2_ffffffiffbi: ; @_Z21kOptimizer32bit1StateIfLi1EEvPT_S1_PfS2_ffffffiffbi
; %bb.0:
	s_clause 0x3
	s_load_b256 s[16:23], s[0:1], 0x20
	s_load_b256 s[4:11], s[0:1], 0x0
	s_load_b128 s[24:27], s[0:1], 0x40
	s_load_b32 s3, s[0:1], 0x5c
	v_mov_b32_e32 v18, 1.0
	s_waitcnt lgkmcnt(0)
	v_cmp_ngt_f32_e64 s2, s16, 0
	s_delay_alu instid0(VALU_DEP_1)
	s_and_b32 vcc_lo, exec_lo, s2
	s_cbranch_vccnz .LBB51_3
; %bb.1:
	s_load_b32 s2, s[10:11], 0x0
	v_mov_b32_e32 v18, 1.0
	s_waitcnt lgkmcnt(0)
	v_mul_f32_e64 v1, 0x4f800000, s2
	v_cmp_gt_f32_e64 vcc_lo, 0xf800000, s2
	s_delay_alu instid0(VALU_DEP_2) | instskip(NEXT) | instid1(VALU_DEP_1)
	v_cndmask_b32_e32 v2, s2, v1, vcc_lo
	v_sqrt_f32_e32 v1, v2
	s_waitcnt_depctr 0xfff
	v_add_nc_u32_e32 v3, -1, v1
	v_add_nc_u32_e32 v4, 1, v1
	s_delay_alu instid0(VALU_DEP_2) | instskip(NEXT) | instid1(VALU_DEP_2)
	v_fma_f32 v5, -v3, v1, v2
	v_fma_f32 v6, -v4, v1, v2
	s_delay_alu instid0(VALU_DEP_2) | instskip(NEXT) | instid1(VALU_DEP_1)
	v_cmp_ge_f32_e64 s2, 0, v5
	v_cndmask_b32_e64 v1, v1, v3, s2
	s_delay_alu instid0(VALU_DEP_3) | instskip(NEXT) | instid1(VALU_DEP_1)
	v_cmp_lt_f32_e64 s2, 0, v6
	v_cndmask_b32_e64 v1, v1, v4, s2
	s_delay_alu instid0(VALU_DEP_1) | instskip(NEXT) | instid1(VALU_DEP_1)
	v_dual_mov_b32 v4, s20 :: v_dual_mul_f32 v3, 0x37800000, v1
	v_cndmask_b32_e32 v3, v1, v3, vcc_lo
	v_cmp_class_f32_e64 vcc_lo, v2, 0x260
	s_delay_alu instid0(VALU_DEP_3) | instskip(NEXT) | instid1(VALU_DEP_3)
	v_fma_f32 v1, s17, s16, v4
	v_cndmask_b32_e32 v2, v3, v2, vcc_lo
	s_delay_alu instid0(VALU_DEP_1)
	v_cmp_ngt_f32_e32 vcc_lo, v2, v1
	s_cbranch_vccnz .LBB51_3
; %bb.2:
	v_div_scale_f32 v3, null, v2, v2, v1
	s_delay_alu instid0(VALU_DEP_1) | instskip(SKIP_2) | instid1(VALU_DEP_1)
	v_rcp_f32_e32 v4, v3
	s_waitcnt_depctr 0xfff
	v_fma_f32 v5, -v3, v4, 1.0
	v_fmac_f32_e32 v4, v5, v4
	v_div_scale_f32 v5, vcc_lo, v1, v2, v1
	s_delay_alu instid0(VALU_DEP_1) | instskip(NEXT) | instid1(VALU_DEP_1)
	v_mul_f32_e32 v6, v5, v4
	v_fma_f32 v7, -v3, v6, v5
	s_delay_alu instid0(VALU_DEP_1) | instskip(NEXT) | instid1(VALU_DEP_1)
	v_fmac_f32_e32 v6, v7, v4
	v_fma_f32 v3, -v3, v6, v5
	s_delay_alu instid0(VALU_DEP_1) | instskip(NEXT) | instid1(VALU_DEP_1)
	v_div_fmas_f32 v3, v3, v4, v6
	v_div_fixup_f32 v18, v3, v2, v1
.LBB51_3:
	s_ashr_i32 s2, s26, 31
	s_and_b32 s10, s26, 0xfff
	s_lshr_b32 s2, s2, 20
	s_delay_alu instid0(SALU_CYCLE_1) | instskip(NEXT) | instid1(SALU_CYCLE_1)
	s_add_i32 s2, s26, s2
	s_and_b32 s2, s2, 0xfffff000
	s_cmp_lg_u32 s10, 0
	s_cselect_b32 s10, -1, 0
	s_and_b32 s3, 0xffff, s3
	v_cndmask_b32_e64 v1, 0, 1, s10
	s_mul_i32 s15, s15, s3
	s_delay_alu instid0(VALU_DEP_1) | instskip(NEXT) | instid1(VALU_DEP_1)
	v_readfirstlane_b32 s10, v1
	s_lshl_b32 s12, s10, 12
	s_lshl_b32 s10, s15, 2
	s_add_i32 s12, s12, s2
	s_delay_alu instid0(SALU_CYCLE_1)
	s_cmp_ge_u32 s10, s12
	s_cbranch_scc1 .LBB51_52
; %bb.4:
	v_lshlrev_b32_e32 v1, 2, v0
	v_mbcnt_lo_u32_b32 v2, -1, 0
	s_load_b32 s1, s[0:1], 0x50
	s_bitcmp1_b32 s25, 0
	s_mov_b32 s11, 0
	v_and_b32_e32 v1, 0xf80, v1
	v_and_or_b32 v0, 0x3e0, v0, v2
	v_lshlrev_b32_e32 v3, 2, v2
	s_cselect_b32 s13, -1, 0
	s_cmp_eq_u32 s22, 1
	v_or_b32_e32 v19, v2, v1
	v_lshlrev_b32_e32 v7, 2, v0
	v_bfe_u32 v0, v0, 3, 27
	v_lshlrev_b32_e32 v4, 2, v1
	v_add_co_u32 v5, s0, s4, v3
	v_or_b32_e32 v22, 32, v19
	v_lshrrev_b32_e32 v1, 5, v1
	v_add_co_ci_u32_e64 v6, null, s5, 0, s0
	v_add_lshl_u32 v29, v0, v7, 2
	s_delay_alu instid0(VALU_DEP_4)
	v_lshrrev_b32_e32 v2, 5, v22
	v_add_co_u32 v0, s0, s8, v3
	v_or_b32_e32 v23, 64, v19
	v_or_b32_e32 v24, 0x60, v19
	v_add_co_u32 v20, vcc_lo, v5, v4
	v_add_lshl_u32 v25, v1, v19, 2
	v_add_co_ci_u32_e64 v1, null, s9, 0, s0
	v_add_lshl_u32 v26, v2, v22, 2
	v_add_co_u32 v2, s0, s6, v3
	v_add_co_ci_u32_e32 v21, vcc_lo, 0, v6, vcc_lo
	v_add_co_ci_u32_e64 v3, null, s7, 0, s0
	v_add_co_u32 v30, vcc_lo, v0, v4
	v_lshrrev_b32_e32 v5, 5, v23
	v_lshrrev_b32_e32 v6, 5, v24
	v_add_co_ci_u32_e32 v31, vcc_lo, 0, v1, vcc_lo
	v_add_co_u32 v32, vcc_lo, v2, v4
	v_add_co_ci_u32_e32 v33, vcc_lo, 0, v3, vcc_lo
	v_add_lshl_u32 v27, v5, v23, 2
	v_add_lshl_u32 v28, v6, v24, 2
	v_cmp_gt_f32_e64 vcc_lo, s21, 0
	s_cselect_b32 s0, -1, 0
	s_waitcnt lgkmcnt(0)
	s_lshl_b32 s8, s1, 12
	s_sub_i32 s9, s26, s10
	s_xor_b32 s14, s13, -1
                                        ; implicit-def: $vgpr8_vgpr9_vgpr10_vgpr11
                                        ; implicit-def: $vgpr4_vgpr5_vgpr6_vgpr7
                                        ; implicit-def: $vgpr0_vgpr1_vgpr2_vgpr3
	s_branch .LBB51_6
.LBB51_5:                               ;   in Loop: Header=BB51_6 Depth=1
	s_or_b32 exec_lo, exec_lo, s1
	s_add_i32 s10, s10, s8
	s_sub_i32 s9, s9, s8
	s_cmp_ge_u32 s10, s12
	s_cbranch_scc1 .LBB51_52
.LBB51_6:                               ; =>This Inner Loop Header: Depth=1
	s_lshl_b64 s[6:7], s[10:11], 2
	s_min_u32 s4, s9, 0x1000
	v_add_co_u32 v12, s1, v20, s6
	s_delay_alu instid0(VALU_DEP_1)
	v_add_co_ci_u32_e64 v13, s1, s7, v21, s1
	v_cmp_gt_u32_e64 s1, s4, v19
	s_waitcnt lgkmcnt(0)
	s_waitcnt_vscnt null, 0x0
	s_barrier
	buffer_gl0_inv
	s_and_saveexec_b32 s2, s1
	s_cbranch_execnz .LBB51_36
; %bb.7:                                ;   in Loop: Header=BB51_6 Depth=1
	s_or_b32 exec_lo, exec_lo, s2
	v_cmp_gt_u32_e64 s2, s4, v22
	s_delay_alu instid0(VALU_DEP_1)
	s_and_saveexec_b32 s3, s2
	s_cbranch_execnz .LBB51_37
.LBB51_8:                               ;   in Loop: Header=BB51_6 Depth=1
	s_or_b32 exec_lo, exec_lo, s3
	v_cmp_gt_u32_e64 s3, s4, v23
	s_delay_alu instid0(VALU_DEP_1)
	s_and_saveexec_b32 s5, s3
	s_cbranch_execnz .LBB51_38
.LBB51_9:                               ;   in Loop: Header=BB51_6 Depth=1
	s_or_b32 exec_lo, exec_lo, s5
	v_cmp_gt_u32_e64 s4, s4, v24
	s_delay_alu instid0(VALU_DEP_1)
	s_and_saveexec_b32 s5, s4
	s_cbranch_execz .LBB51_11
.LBB51_10:                              ;   in Loop: Header=BB51_6 Depth=1
	global_load_b32 v3, v[12:13], off offset:384
.LBB51_11:                              ;   in Loop: Header=BB51_6 Depth=1
	s_or_b32 exec_lo, exec_lo, s5
	s_waitcnt vmcnt(0)
	ds_store_b32 v25, v0
	ds_store_b32 v26, v1
	;; [unrolled: 1-line block ×4, first 2 shown]
	; wave barrier
	ds_load_2addr_b32 v[16:17], v29 offset1:1
	ds_load_2addr_b32 v[1:2], v29 offset0:2 offset1:3
	v_add_co_u32 v12, s5, v30, s6
	s_delay_alu instid0(VALU_DEP_1)
	v_add_co_ci_u32_e64 v13, s5, s7, v31, s5
	s_waitcnt lgkmcnt(0)
	s_barrier
	buffer_gl0_inv
	s_and_saveexec_b32 s5, s1
	s_cbranch_execnz .LBB51_39
; %bb.12:                               ;   in Loop: Header=BB51_6 Depth=1
	s_or_b32 exec_lo, exec_lo, s5
	s_and_saveexec_b32 s5, s2
	s_cbranch_execnz .LBB51_40
.LBB51_13:                              ;   in Loop: Header=BB51_6 Depth=1
	s_or_b32 exec_lo, exec_lo, s5
	s_and_saveexec_b32 s5, s3
	s_cbranch_execnz .LBB51_41
.LBB51_14:                              ;   in Loop: Header=BB51_6 Depth=1
	s_or_b32 exec_lo, exec_lo, s5
	s_and_saveexec_b32 s5, s4
	s_cbranch_execz .LBB51_16
.LBB51_15:                              ;   in Loop: Header=BB51_6 Depth=1
	global_load_b32 v11, v[12:13], off offset:384
.LBB51_16:                              ;   in Loop: Header=BB51_6 Depth=1
	s_or_b32 exec_lo, exec_lo, s5
	s_waitcnt vmcnt(0)
	ds_store_b32 v25, v8
	ds_store_b32 v26, v9
	;; [unrolled: 1-line block ×4, first 2 shown]
	; wave barrier
	ds_load_2addr_b32 v[10:11], v29 offset1:1
	ds_load_2addr_b32 v[8:9], v29 offset0:2 offset1:3
	v_add_co_u32 v14, s5, v32, s6
	s_delay_alu instid0(VALU_DEP_1)
	v_add_co_ci_u32_e64 v15, s5, s7, v33, s5
	s_waitcnt lgkmcnt(0)
	s_barrier
	buffer_gl0_inv
	s_and_saveexec_b32 s5, s1
	s_cbranch_execnz .LBB51_42
; %bb.17:                               ;   in Loop: Header=BB51_6 Depth=1
	s_or_b32 exec_lo, exec_lo, s5
	s_and_saveexec_b32 s5, s2
	s_cbranch_execnz .LBB51_43
.LBB51_18:                              ;   in Loop: Header=BB51_6 Depth=1
	s_or_b32 exec_lo, exec_lo, s5
	s_and_saveexec_b32 s5, s3
	s_cbranch_execnz .LBB51_44
.LBB51_19:                              ;   in Loop: Header=BB51_6 Depth=1
	s_or_b32 exec_lo, exec_lo, s5
	s_and_saveexec_b32 s5, s4
	s_cbranch_execz .LBB51_21
.LBB51_20:                              ;   in Loop: Header=BB51_6 Depth=1
	global_load_b32 v7, v[14:15], off offset:384
.LBB51_21:                              ;   in Loop: Header=BB51_6 Depth=1
	s_or_b32 exec_lo, exec_lo, s5
	s_waitcnt vmcnt(0)
	ds_store_b32 v25, v4
	ds_store_b32 v26, v5
	;; [unrolled: 1-line block ×4, first 2 shown]
	; wave barrier
	ds_load_2addr_b32 v[4:5], v29 offset1:1
	ds_load_2addr_b32 v[6:7], v29 offset0:2 offset1:3
	v_mul_f32_e32 v0, s24, v16
	v_mul_f32_e32 v16, s24, v17
	;; [unrolled: 1-line block ×3, first 2 shown]
	s_waitcnt lgkmcnt(1)
	s_delay_alu instid0(VALU_DEP_3) | instskip(SKIP_1) | instid1(VALU_DEP_2)
	v_fma_f32 v3, s21, v4, v0
	s_waitcnt lgkmcnt(0)
	v_fma_f32 v36, s21, v7, v34
	s_delay_alu instid0(VALU_DEP_2) | instskip(NEXT) | instid1(VALU_DEP_1)
	v_cndmask_b32_e32 v0, v0, v3, vcc_lo
	v_fma_f32 v3, s18, v10, v0
	s_delay_alu instid0(VALU_DEP_1) | instskip(SKIP_2) | instid1(VALU_DEP_3)
	v_cndmask_b32_e64 v17, v3, v0, s0
	v_mul_f32_e32 v3, s24, v1
	v_fma_f32 v1, s21, v5, v16
	v_mul_f32_e32 v2, s23, v17
	s_delay_alu instid0(VALU_DEP_3) | instskip(NEXT) | instid1(VALU_DEP_3)
	v_fma_f32 v35, s21, v6, v3
	v_cndmask_b32_e32 v1, v16, v1, vcc_lo
	s_delay_alu instid0(VALU_DEP_3) | instskip(NEXT) | instid1(VALU_DEP_3)
	v_fma_f32 v16, -v18, v2, v4
	v_dual_cndmask_b32 v2, v3, v35 :: v_dual_cndmask_b32 v3, v34, v36
	v_cmp_eq_f32_e64 s5, 0, v0
	s_delay_alu instid0(VALU_DEP_4) | instskip(NEXT) | instid1(VALU_DEP_2)
	v_cmp_neq_f32_e64 s6, 0, v1
	s_and_b32 s5, s13, s5
	s_delay_alu instid0(VALU_DEP_1)
	s_or_b32 s6, s14, s6
	v_cndmask_b32_e64 v4, v16, v4, s5
	v_cndmask_b32_e64 v10, v17, v10, s5
	s_and_saveexec_b32 s5, s6
; %bb.22:                               ;   in Loop: Header=BB51_6 Depth=1
	v_fma_f32 v11, s18, v11, v1
	v_cndmask_b32_e64 v9, v9, v9, s0
	v_cndmask_b32_e64 v8, v8, v8, s0
	;; [unrolled: 1-line block ×3, first 2 shown]
	s_delay_alu instid0(VALU_DEP_4) | instskip(NEXT) | instid1(VALU_DEP_1)
	v_cndmask_b32_e64 v11, v11, v1, s0
	v_mul_f32_e32 v16, s23, v11
	s_delay_alu instid0(VALU_DEP_1)
	v_fma_f32 v5, -v18, v16, v5
; %bb.23:                               ;   in Loop: Header=BB51_6 Depth=1
	s_or_b32 exec_lo, exec_lo, s5
	v_cmp_neq_f32_e64 s5, 0, v2
	s_delay_alu instid0(VALU_DEP_1) | instskip(NEXT) | instid1(SALU_CYCLE_1)
	s_or_b32 s6, s14, s5
	s_and_saveexec_b32 s5, s6
; %bb.24:                               ;   in Loop: Header=BB51_6 Depth=1
	v_fma_f32 v8, s18, v8, v2
	v_cndmask_b32_e64 v9, v9, v9, s0
	v_cndmask_b32_e64 v11, v11, v11, s0
	;; [unrolled: 1-line block ×3, first 2 shown]
	s_delay_alu instid0(VALU_DEP_4) | instskip(NEXT) | instid1(VALU_DEP_1)
	v_cndmask_b32_e64 v8, v8, v2, s0
	v_mul_f32_e32 v16, s23, v8
	s_delay_alu instid0(VALU_DEP_1)
	v_fma_f32 v6, -v18, v16, v6
; %bb.25:                               ;   in Loop: Header=BB51_6 Depth=1
	s_or_b32 exec_lo, exec_lo, s5
	v_cmp_neq_f32_e64 s5, 0, v3
	s_delay_alu instid0(VALU_DEP_1) | instskip(NEXT) | instid1(SALU_CYCLE_1)
	s_or_b32 s6, s14, s5
	s_and_saveexec_b32 s5, s6
; %bb.26:                               ;   in Loop: Header=BB51_6 Depth=1
	v_fma_f32 v9, s18, v9, v3
	v_cndmask_b32_e64 v8, v8, v8, s0
	v_cndmask_b32_e64 v11, v11, v11, s0
	;; [unrolled: 1-line block ×3, first 2 shown]
	s_delay_alu instid0(VALU_DEP_4) | instskip(NEXT) | instid1(VALU_DEP_1)
	v_cndmask_b32_e64 v9, v9, v3, s0
	v_mul_f32_e32 v16, s23, v9
	s_delay_alu instid0(VALU_DEP_1)
	v_fma_f32 v7, -v18, v16, v7
; %bb.27:                               ;   in Loop: Header=BB51_6 Depth=1
	s_or_b32 exec_lo, exec_lo, s5
	s_barrier
	buffer_gl0_inv
	ds_store_2addr_b32 v29, v4, v5 offset1:1
	ds_store_2addr_b32 v29, v6, v7 offset0:2 offset1:3
	; wave barrier
	ds_load_b32 v4, v25
	ds_load_b32 v5, v26
	;; [unrolled: 1-line block ×4, first 2 shown]
	s_and_saveexec_b32 s5, s1
	s_delay_alu instid0(SALU_CYCLE_1)
	s_xor_b32 s5, exec_lo, s5
	s_cbranch_execnz .LBB51_45
; %bb.28:                               ;   in Loop: Header=BB51_6 Depth=1
	s_or_b32 exec_lo, exec_lo, s5
	s_and_saveexec_b32 s5, s2
	s_cbranch_execnz .LBB51_46
.LBB51_29:                              ;   in Loop: Header=BB51_6 Depth=1
	s_or_b32 exec_lo, exec_lo, s5
	s_and_saveexec_b32 s5, s3
	s_cbranch_execnz .LBB51_47
.LBB51_30:                              ;   in Loop: Header=BB51_6 Depth=1
	s_or_b32 exec_lo, exec_lo, s5
	s_and_saveexec_b32 s5, s4
	s_cbranch_execz .LBB51_32
.LBB51_31:                              ;   in Loop: Header=BB51_6 Depth=1
	s_waitcnt lgkmcnt(0)
	global_store_b32 v[14:15], v7, off offset:384
.LBB51_32:                              ;   in Loop: Header=BB51_6 Depth=1
	s_or_b32 exec_lo, exec_lo, s5
	s_waitcnt lgkmcnt(0)
	s_waitcnt_vscnt null, 0x0
	s_barrier
	buffer_gl0_inv
	ds_store_2addr_b32 v29, v10, v11 offset1:1
	ds_store_2addr_b32 v29, v8, v9 offset0:2 offset1:3
	; wave barrier
	ds_load_b32 v8, v25
	ds_load_b32 v9, v26
	;; [unrolled: 1-line block ×4, first 2 shown]
	s_and_saveexec_b32 s5, s1
	s_cbranch_execnz .LBB51_48
; %bb.33:                               ;   in Loop: Header=BB51_6 Depth=1
	s_or_b32 exec_lo, exec_lo, s5
	s_and_saveexec_b32 s1, s2
	s_cbranch_execnz .LBB51_49
.LBB51_34:                              ;   in Loop: Header=BB51_6 Depth=1
	s_or_b32 exec_lo, exec_lo, s1
	s_and_saveexec_b32 s1, s3
	s_cbranch_execnz .LBB51_50
.LBB51_35:                              ;   in Loop: Header=BB51_6 Depth=1
	s_or_b32 exec_lo, exec_lo, s1
	s_and_saveexec_b32 s1, s4
	s_cbranch_execz .LBB51_5
	s_branch .LBB51_51
.LBB51_36:                              ;   in Loop: Header=BB51_6 Depth=1
	global_load_b32 v0, v[12:13], off
	s_or_b32 exec_lo, exec_lo, s2
	v_cmp_gt_u32_e64 s2, s4, v22
	s_delay_alu instid0(VALU_DEP_1)
	s_and_saveexec_b32 s3, s2
	s_cbranch_execz .LBB51_8
.LBB51_37:                              ;   in Loop: Header=BB51_6 Depth=1
	global_load_b32 v1, v[12:13], off offset:128
	s_or_b32 exec_lo, exec_lo, s3
	v_cmp_gt_u32_e64 s3, s4, v23
	s_delay_alu instid0(VALU_DEP_1)
	s_and_saveexec_b32 s5, s3
	s_cbranch_execz .LBB51_9
.LBB51_38:                              ;   in Loop: Header=BB51_6 Depth=1
	global_load_b32 v2, v[12:13], off offset:256
	s_or_b32 exec_lo, exec_lo, s5
	v_cmp_gt_u32_e64 s4, s4, v24
	s_delay_alu instid0(VALU_DEP_1)
	s_and_saveexec_b32 s5, s4
	s_cbranch_execnz .LBB51_10
	s_branch .LBB51_11
.LBB51_39:                              ;   in Loop: Header=BB51_6 Depth=1
	global_load_b32 v8, v[12:13], off
	s_or_b32 exec_lo, exec_lo, s5
	s_and_saveexec_b32 s5, s2
	s_cbranch_execz .LBB51_13
.LBB51_40:                              ;   in Loop: Header=BB51_6 Depth=1
	global_load_b32 v9, v[12:13], off offset:128
	s_or_b32 exec_lo, exec_lo, s5
	s_and_saveexec_b32 s5, s3
	s_cbranch_execz .LBB51_14
.LBB51_41:                              ;   in Loop: Header=BB51_6 Depth=1
	global_load_b32 v10, v[12:13], off offset:256
	s_or_b32 exec_lo, exec_lo, s5
	s_and_saveexec_b32 s5, s4
	s_cbranch_execnz .LBB51_15
	s_branch .LBB51_16
.LBB51_42:                              ;   in Loop: Header=BB51_6 Depth=1
	global_load_b32 v4, v[14:15], off
	s_or_b32 exec_lo, exec_lo, s5
	s_and_saveexec_b32 s5, s2
	s_cbranch_execz .LBB51_18
.LBB51_43:                              ;   in Loop: Header=BB51_6 Depth=1
	global_load_b32 v5, v[14:15], off offset:128
	s_or_b32 exec_lo, exec_lo, s5
	s_and_saveexec_b32 s5, s3
	s_cbranch_execz .LBB51_19
.LBB51_44:                              ;   in Loop: Header=BB51_6 Depth=1
	global_load_b32 v6, v[14:15], off offset:256
	s_or_b32 exec_lo, exec_lo, s5
	s_and_saveexec_b32 s5, s4
	s_cbranch_execnz .LBB51_20
	s_branch .LBB51_21
.LBB51_45:                              ;   in Loop: Header=BB51_6 Depth=1
	s_waitcnt lgkmcnt(3)
	global_store_b32 v[14:15], v4, off
	s_or_b32 exec_lo, exec_lo, s5
	s_and_saveexec_b32 s5, s2
	s_cbranch_execz .LBB51_29
.LBB51_46:                              ;   in Loop: Header=BB51_6 Depth=1
	s_waitcnt lgkmcnt(2)
	global_store_b32 v[14:15], v5, off offset:128
	s_or_b32 exec_lo, exec_lo, s5
	s_and_saveexec_b32 s5, s3
	s_cbranch_execz .LBB51_30
.LBB51_47:                              ;   in Loop: Header=BB51_6 Depth=1
	s_waitcnt lgkmcnt(1)
	global_store_b32 v[14:15], v6, off offset:256
	s_or_b32 exec_lo, exec_lo, s5
	s_and_saveexec_b32 s5, s4
	s_cbranch_execnz .LBB51_31
	s_branch .LBB51_32
.LBB51_48:                              ;   in Loop: Header=BB51_6 Depth=1
	s_waitcnt lgkmcnt(3)
	global_store_b32 v[12:13], v8, off
	s_or_b32 exec_lo, exec_lo, s5
	s_and_saveexec_b32 s1, s2
	s_cbranch_execz .LBB51_34
.LBB51_49:                              ;   in Loop: Header=BB51_6 Depth=1
	s_waitcnt lgkmcnt(2)
	global_store_b32 v[12:13], v9, off offset:128
	s_or_b32 exec_lo, exec_lo, s1
	s_and_saveexec_b32 s1, s3
	s_cbranch_execz .LBB51_35
.LBB51_50:                              ;   in Loop: Header=BB51_6 Depth=1
	s_waitcnt lgkmcnt(1)
	global_store_b32 v[12:13], v10, off offset:256
	s_or_b32 exec_lo, exec_lo, s1
	s_and_saveexec_b32 s1, s4
	s_cbranch_execz .LBB51_5
.LBB51_51:                              ;   in Loop: Header=BB51_6 Depth=1
	s_waitcnt lgkmcnt(0)
	global_store_b32 v[12:13], v11, off offset:384
	s_branch .LBB51_5
.LBB51_52:
	s_nop 0
	s_sendmsg sendmsg(MSG_DEALLOC_VGPRS)
	s_endpgm
	.section	.rodata,"a",@progbits
	.p2align	6, 0x0
	.amdhsa_kernel _Z21kOptimizer32bit1StateIfLi1EEvPT_S1_PfS2_ffffffiffbi
		.amdhsa_group_segment_fixed_size 16896
		.amdhsa_private_segment_fixed_size 0
		.amdhsa_kernarg_size 336
		.amdhsa_user_sgpr_count 15
		.amdhsa_user_sgpr_dispatch_ptr 0
		.amdhsa_user_sgpr_queue_ptr 0
		.amdhsa_user_sgpr_kernarg_segment_ptr 1
		.amdhsa_user_sgpr_dispatch_id 0
		.amdhsa_user_sgpr_private_segment_size 0
		.amdhsa_wavefront_size32 1
		.amdhsa_uses_dynamic_stack 0
		.amdhsa_enable_private_segment 0
		.amdhsa_system_sgpr_workgroup_id_x 1
		.amdhsa_system_sgpr_workgroup_id_y 0
		.amdhsa_system_sgpr_workgroup_id_z 0
		.amdhsa_system_sgpr_workgroup_info 0
		.amdhsa_system_vgpr_workitem_id 0
		.amdhsa_next_free_vgpr 37
		.amdhsa_next_free_sgpr 28
		.amdhsa_reserve_vcc 1
		.amdhsa_float_round_mode_32 0
		.amdhsa_float_round_mode_16_64 0
		.amdhsa_float_denorm_mode_32 3
		.amdhsa_float_denorm_mode_16_64 3
		.amdhsa_dx10_clamp 1
		.amdhsa_ieee_mode 1
		.amdhsa_fp16_overflow 0
		.amdhsa_workgroup_processor_mode 1
		.amdhsa_memory_ordered 1
		.amdhsa_forward_progress 0
		.amdhsa_shared_vgpr_count 0
		.amdhsa_exception_fp_ieee_invalid_op 0
		.amdhsa_exception_fp_denorm_src 0
		.amdhsa_exception_fp_ieee_div_zero 0
		.amdhsa_exception_fp_ieee_overflow 0
		.amdhsa_exception_fp_ieee_underflow 0
		.amdhsa_exception_fp_ieee_inexact 0
		.amdhsa_exception_int_div_zero 0
	.end_amdhsa_kernel
	.section	.text._Z21kOptimizer32bit1StateIfLi1EEvPT_S1_PfS2_ffffffiffbi,"axG",@progbits,_Z21kOptimizer32bit1StateIfLi1EEvPT_S1_PfS2_ffffffiffbi,comdat
.Lfunc_end51:
	.size	_Z21kOptimizer32bit1StateIfLi1EEvPT_S1_PfS2_ffffffiffbi, .Lfunc_end51-_Z21kOptimizer32bit1StateIfLi1EEvPT_S1_PfS2_ffffffiffbi
                                        ; -- End function
	.section	.AMDGPU.csdata,"",@progbits
; Kernel info:
; codeLenInByte = 2268
; NumSgprs: 30
; NumVgprs: 37
; ScratchSize: 0
; MemoryBound: 0
; FloatMode: 240
; IeeeMode: 1
; LDSByteSize: 16896 bytes/workgroup (compile time only)
; SGPRBlocks: 3
; VGPRBlocks: 4
; NumSGPRsForWavesPerEU: 30
; NumVGPRsForWavesPerEU: 37
; Occupancy: 16
; WaveLimiterHint : 0
; COMPUTE_PGM_RSRC2:SCRATCH_EN: 0
; COMPUTE_PGM_RSRC2:USER_SGPR: 15
; COMPUTE_PGM_RSRC2:TRAP_HANDLER: 0
; COMPUTE_PGM_RSRC2:TGID_X_EN: 1
; COMPUTE_PGM_RSRC2:TGID_Y_EN: 0
; COMPUTE_PGM_RSRC2:TGID_Z_EN: 0
; COMPUTE_PGM_RSRC2:TIDIG_COMP_CNT: 0
	.section	.text._Z21kOptimizer32bit1StateI12hip_bfloat16Li1EEvPT_S2_PfS3_ffffffiffbi,"axG",@progbits,_Z21kOptimizer32bit1StateI12hip_bfloat16Li1EEvPT_S2_PfS3_ffffffiffbi,comdat
